;; amdgpu-corpus repo=linkedin/Liger-Kernel kind=triton arch=gfx950 opt=O3 lang=triton
	.amdgcn_target "amdgcn-amd-amdhsa--gfx950"
	.amdhsa_code_object_version 5
	.text
	.globl	_block_rms_norm_forward_kernel  ; -- Begin function _block_rms_norm_forward_kernel
	.p2align	8
	.type	_block_rms_norm_forward_kernel,@function
_block_rms_norm_forward_kernel:         ; @_block_rms_norm_forward_kernel
.Lfunc_begin0:
	.cfi_sections .debug_frame
	.cfi_startproc
; %bb.73:
	.file	1 "/root/src/amdgpu-assembly/repos/linkedin__Liger-Kernel/triton_aot_kernels" "rms_norm_aot.py"
	.loc	1 185 0 prologue_end            ; rms_norm_aot.py:185:0
	s_load_dwordx2 s[2:3], s[0:1], 0x0
	s_load_dwordx8 s[4:11], s[0:1], 0x8
	s_load_dwordx4 s[12:15], s[0:1], 0x28
	s_waitcnt lgkmcnt(0)
	s_branch .LBB0_0
	.loc	1 0 0 is_stmt 0                 ; :0:0
.Ltmp0:
	.p2align	8
; %bb.74:
.LBB0_0:
	s_load_dwordx2 s[54:55], s[0:1], 0x3c
.Ltmp1:
	.loc	1 246 57 is_stmt 1              ; rms_norm_aot.py:246:57
	v_readfirstlane_b32 s56, v0
	.loc	1 212 33                        ; rms_norm_aot.py:212:33
	s_lshl_b32 s5, s16, 2
	.loc	1 212 58 is_stmt 0              ; rms_norm_aot.py:212:58
	v_and_b32_e32 v6, 63, v0
	s_and_b32 s33, s56, 0xc0
	v_or_b32_e32 v2, s33, v6
	.loc	1 214 25 is_stmt 1              ; rms_norm_aot.py:214:25
	s_waitcnt lgkmcnt(0)
	s_cmp_lt_i32 s5, s54
	.loc	1 218 35                        ; rms_norm_aot.py:218:35
	s_mul_i32 s22, s8, s5
	.loc	1 214 25                        ; rms_norm_aot.py:214:25
	s_cselect_b64 s[24:25], -1, 0
	.loc	1 215 29                        ; rms_norm_aot.py:215:29
	v_cmp_gt_i32_e32 vcc, s55, v2
	.loc	1 218 16                        ; rms_norm_aot.py:218:16
	s_ashr_i32 s23, s22, 31
	s_mov_b64 s[20:21], s[10:11]
	.loc	1 219 33                        ; rms_norm_aot.py:219:33
	s_and_b64 s[18:19], s[24:25], vcc
	.loc	1 218 16                        ; rms_norm_aot.py:218:16
	s_lshl_b64 s[10:11], s[22:23], 1
	s_add_u32 s26, s6, s10
	s_addc_u32 s27, s7, s11
	.loc	1 218 50 is_stmt 0              ; rms_norm_aot.py:218:50
	v_mov_b32_e32 v5, 0
	v_lshlrev_b32_e32 v4, 1, v2
	.loc	1 218 8                         ; rms_norm_aot.py:218:8
	v_mov_b32_e32 v7, 0
	.loc	1 218 50                        ; rms_norm_aot.py:218:50
	v_lshl_add_u64 v[4:5], s[26:27], 0, v[4:5]
	v_mov_b32_e32 v1, v7
	.loc	1 218 8                         ; rms_norm_aot.py:218:8
	s_and_saveexec_b64 s[10:11], s[18:19]
	s_cbranch_execz .LBB0_2
; %bb.1:
	global_load_ushort v1, v[4:5], off
.LBB0_2:
	.loc	1 0 8                           ; rms_norm_aot.py:0:8
	s_or_b64 exec, exec, s[10:11]
	.loc	1 213 31 is_stmt 1              ; rms_norm_aot.py:213:31
	v_or_b32_e32 v19, 0x100, v2
	.loc	1 215 29                        ; rms_norm_aot.py:215:29
	v_cmp_gt_i32_e64 s[12:13], s55, v19
	.loc	1 219 33                        ; rms_norm_aot.py:219:33
	s_and_b64 s[40:41], s[24:25], s[12:13]
	.loc	1 218 8                         ; rms_norm_aot.py:218:8
	s_and_saveexec_b64 s[10:11], s[40:41]
	s_cbranch_execz .LBB0_4
; %bb.3:
	global_load_ushort v7, v[4:5], off offset:512
.LBB0_4:
	.loc	1 0 8 is_stmt 0                 ; rms_norm_aot.py:0:8
	s_or_b64 exec, exec, s[10:11]
	.loc	1 213 31 is_stmt 1              ; rms_norm_aot.py:213:31
	v_or_b32_e32 v20, 0x200, v2
	.loc	1 215 29                        ; rms_norm_aot.py:215:29
	v_cmp_gt_i32_e64 s[16:17], s55, v20
	.loc	1 218 8                         ; rms_norm_aot.py:218:8
	v_mov_b32_e32 v8, 0
	.loc	1 219 33                        ; rms_norm_aot.py:219:33
	s_and_b64 s[30:31], s[24:25], s[16:17]
	v_mov_b32_e32 v9, v8
	.loc	1 218 8                         ; rms_norm_aot.py:218:8
	s_and_saveexec_b64 s[10:11], s[30:31]
	s_cbranch_execz .LBB0_6
; %bb.5:
	global_load_ushort v9, v[4:5], off offset:1024
.LBB0_6:
	.loc	1 0 8 is_stmt 0                 ; rms_norm_aot.py:0:8
	s_or_b64 exec, exec, s[10:11]
	.loc	1 213 31 is_stmt 1              ; rms_norm_aot.py:213:31
	v_or_b32_e32 v21, 0x300, v2
	.loc	1 215 29                        ; rms_norm_aot.py:215:29
	v_cmp_gt_i32_e64 s[10:11], s55, v21
	.loc	1 219 33                        ; rms_norm_aot.py:219:33
	s_and_b64 s[38:39], s[24:25], s[10:11]
	v_mov_b32_e32 v3, 0
	.loc	1 218 8                         ; rms_norm_aot.py:218:8
	s_and_saveexec_b64 s[24:25], s[38:39]
	s_cbranch_execz .LBB0_8
; %bb.7:
	global_load_ushort v8, v[4:5], off offset:1536
.LBB0_8:
	.loc	1 0 8 is_stmt 0                 ; rms_norm_aot.py:0:8
	s_or_b64 exec, exec, s[24:25]
	.loc	1 212 45 is_stmt 1              ; rms_norm_aot.py:212:45
	s_or_b32 s9, s5, 1
	.loc	1 214 25                        ; rms_norm_aot.py:214:25
	s_cmp_lt_i32 s9, s54
	s_cselect_b64 s[28:29], -1, 0
	.loc	1 218 16                        ; rms_norm_aot.py:218:16
	s_ashr_i32 s9, s8, 31
	.loc	1 219 33                        ; rms_norm_aot.py:219:33
	s_and_b64 s[24:25], s[28:29], vcc
	.loc	1 218 16                        ; rms_norm_aot.py:218:16
	s_lshl_b64 s[34:35], s[8:9], 1
	s_add_u32 s26, s26, s34
	s_addc_u32 s27, s27, s35
	.loc	1 218 50 is_stmt 0              ; rms_norm_aot.py:218:50
	v_lshlrev_b32_e32 v2, 1, v2
	.loc	1 218 8                         ; rms_norm_aot.py:218:8
	v_mov_b32_e32 v22, 0
	.loc	1 218 50                        ; rms_norm_aot.py:218:50
	v_lshl_add_u64 v[4:5], s[26:27], 0, v[2:3]
	v_mov_b32_e32 v16, v22
	.loc	1 218 8                         ; rms_norm_aot.py:218:8
	s_and_saveexec_b64 s[26:27], s[24:25]
	s_cbranch_execz .LBB0_10
; %bb.9:
	global_load_ushort v16, v[4:5], off
.LBB0_10:
	.loc	1 0 8                           ; rms_norm_aot.py:0:8
	s_or_b64 exec, exec, s[26:27]
	.loc	1 219 33 is_stmt 1              ; rms_norm_aot.py:219:33
	s_and_b64 s[42:43], s[28:29], s[12:13]
	.loc	1 218 8                         ; rms_norm_aot.py:218:8
	s_and_saveexec_b64 s[26:27], s[42:43]
	s_cbranch_execz .LBB0_12
; %bb.11:
	global_load_ushort v22, v[4:5], off offset:512
.LBB0_12:
	.loc	1 0 8 is_stmt 0                 ; rms_norm_aot.py:0:8
	s_or_b64 exec, exec, s[26:27]
	.loc	1 218 8                         ; rms_norm_aot.py:218:8
	v_mov_b32_e32 v10, 0
	.loc	1 219 33 is_stmt 1              ; rms_norm_aot.py:219:33
	s_and_b64 s[34:35], s[28:29], s[16:17]
	v_mov_b32_e32 v12, v10
	.loc	1 218 8                         ; rms_norm_aot.py:218:8
	s_and_saveexec_b64 s[26:27], s[34:35]
	s_cbranch_execz .LBB0_14
; %bb.13:
	global_load_ushort v12, v[4:5], off offset:1024
.LBB0_14:
	.loc	1 0 8 is_stmt 0                 ; rms_norm_aot.py:0:8
	s_or_b64 exec, exec, s[26:27]
	.loc	1 219 33 is_stmt 1              ; rms_norm_aot.py:219:33
	s_and_b64 s[44:45], s[28:29], s[10:11]
	v_mov_b32_e32 v3, 0
	.loc	1 218 8                         ; rms_norm_aot.py:218:8
	s_and_saveexec_b64 s[26:27], s[44:45]
	s_cbranch_execz .LBB0_16
; %bb.15:
	global_load_ushort v10, v[4:5], off offset:1536
.LBB0_16:
	.loc	1 0 8 is_stmt 0                 ; rms_norm_aot.py:0:8
	s_or_b64 exec, exec, s[26:27]
	.loc	1 212 45 is_stmt 1              ; rms_norm_aot.py:212:45
	s_or_b32 s9, s5, 2
	.loc	1 214 25                        ; rms_norm_aot.py:214:25
	s_cmp_lt_i32 s9, s54
	s_cselect_b64 s[28:29], -1, 0
	.loc	1 218 35                        ; rms_norm_aot.py:218:35
	s_lshl1_add_u32 s36, s8, s22
	.loc	1 218 16 is_stmt 0              ; rms_norm_aot.py:218:16
	s_ashr_i32 s37, s36, 31
	.loc	1 219 33 is_stmt 1              ; rms_norm_aot.py:219:33
	s_and_b64 s[26:27], s[28:29], vcc
	.loc	1 218 16                        ; rms_norm_aot.py:218:16
	s_lshl_b64 s[36:37], s[36:37], 1
	s_add_u32 s36, s6, s36
	s_addc_u32 s37, s7, s37
	.loc	1 218 8 is_stmt 0               ; rms_norm_aot.py:218:8
	v_mov_b32_e32 v25, 0
	.loc	1 218 50                        ; rms_norm_aot.py:218:50
	v_lshl_add_u64 v[4:5], s[36:37], 0, v[2:3]
	v_mov_b32_e32 v17, v25
	.loc	1 218 8                         ; rms_norm_aot.py:218:8
	s_and_saveexec_b64 s[36:37], s[26:27]
	s_cbranch_execz .LBB0_18
; %bb.17:
	global_load_ushort v17, v[4:5], off
.LBB0_18:
	.loc	1 0 8                           ; rms_norm_aot.py:0:8
	s_or_b64 exec, exec, s[36:37]
	.loc	1 219 33 is_stmt 1              ; rms_norm_aot.py:219:33
	s_and_b64 s[46:47], s[28:29], s[12:13]
	.loc	1 218 8                         ; rms_norm_aot.py:218:8
	s_and_saveexec_b64 s[36:37], s[46:47]
	s_cbranch_execz .LBB0_20
; %bb.19:
	global_load_ushort v25, v[4:5], off offset:512
.LBB0_20:
	.loc	1 0 8 is_stmt 0                 ; rms_norm_aot.py:0:8
	s_or_b64 exec, exec, s[36:37]
	.loc	1 218 8                         ; rms_norm_aot.py:218:8
	v_mov_b32_e32 v11, 0
	.loc	1 219 33 is_stmt 1              ; rms_norm_aot.py:219:33
	s_and_b64 s[36:37], s[28:29], s[16:17]
	v_mov_b32_e32 v14, v11
	.loc	1 218 8                         ; rms_norm_aot.py:218:8
	s_and_saveexec_b64 s[48:49], s[36:37]
	s_cbranch_execz .LBB0_22
; %bb.21:
	global_load_ushort v14, v[4:5], off offset:1024
.LBB0_22:
	.loc	1 0 8 is_stmt 0                 ; rms_norm_aot.py:0:8
	s_or_b64 exec, exec, s[48:49]
	.loc	1 219 33 is_stmt 1              ; rms_norm_aot.py:219:33
	s_and_b64 s[48:49], s[28:29], s[10:11]
	v_mov_b32_e32 v3, 0
	.loc	1 218 8                         ; rms_norm_aot.py:218:8
	s_and_saveexec_b64 s[28:29], s[48:49]
	s_cbranch_execz .LBB0_24
; %bb.23:
	global_load_ushort v11, v[4:5], off offset:1536
.LBB0_24:
	.loc	1 0 8 is_stmt 0                 ; rms_norm_aot.py:0:8
	s_or_b64 exec, exec, s[28:29]
	.loc	1 212 45 is_stmt 1              ; rms_norm_aot.py:212:45
	s_or_b32 s9, s5, 3
	.loc	1 214 25                        ; rms_norm_aot.py:214:25
	s_cmp_lt_i32 s9, s54
	.loc	1 218 35                        ; rms_norm_aot.py:218:35
	s_mul_i32 s8, s8, 3
	.loc	1 214 25                        ; rms_norm_aot.py:214:25
	s_cselect_b64 s[52:53], -1, 0
	.loc	1 218 35                        ; rms_norm_aot.py:218:35
	s_add_i32 s8, s22, s8
	.loc	1 218 16 is_stmt 0              ; rms_norm_aot.py:218:16
	s_ashr_i32 s9, s8, 31
	.loc	1 219 33 is_stmt 1              ; rms_norm_aot.py:219:33
	s_and_b64 s[28:29], s[52:53], vcc
	.loc	1 218 16                        ; rms_norm_aot.py:218:16
	s_lshl_b64 s[8:9], s[8:9], 1
	s_add_u32 s6, s6, s8
	s_addc_u32 s7, s7, s9
	.loc	1 218 50 is_stmt 0              ; rms_norm_aot.py:218:50
	v_lshl_add_u64 v[4:5], s[6:7], 0, v[2:3]
	.loc	1 218 8                         ; rms_norm_aot.py:218:8
	v_mov_b32_e32 v3, 0
	v_mov_b32_e32 v18, v3
	s_and_saveexec_b64 s[6:7], s[28:29]
	s_cbranch_execz .LBB0_26
; %bb.25:
	global_load_ushort v18, v[4:5], off
.LBB0_26:
	.loc	1 0 8                           ; rms_norm_aot.py:0:8
	s_or_b64 exec, exec, s[6:7]
	.loc	1 219 33 is_stmt 1              ; rms_norm_aot.py:219:33
	s_and_b64 s[50:51], s[52:53], s[12:13]
	.loc	1 218 8                         ; rms_norm_aot.py:218:8
	s_and_saveexec_b64 s[6:7], s[50:51]
	s_cbranch_execz .LBB0_28
; %bb.27:
	global_load_ushort v3, v[4:5], off offset:512
.LBB0_28:
	.loc	1 0 8 is_stmt 0                 ; rms_norm_aot.py:0:8
	s_or_b64 exec, exec, s[6:7]
	.loc	1 218 8                         ; rms_norm_aot.py:218:8
	v_mov_b32_e32 v13, 0
	.loc	1 219 33 is_stmt 1              ; rms_norm_aot.py:219:33
	s_and_b64 s[8:9], s[52:53], s[16:17]
	v_mov_b32_e32 v15, v13
	.loc	1 218 8                         ; rms_norm_aot.py:218:8
	s_and_saveexec_b64 s[6:7], s[8:9]
	s_cbranch_execz .LBB0_30
; %bb.29:
	global_load_ushort v15, v[4:5], off offset:1024
.LBB0_30:
	.loc	1 0 8 is_stmt 0                 ; rms_norm_aot.py:0:8
	s_or_b64 exec, exec, s[6:7]
	.loc	1 219 33 is_stmt 1              ; rms_norm_aot.py:219:33
	s_and_b64 s[52:53], s[52:53], s[10:11]
	.loc	1 218 8                         ; rms_norm_aot.py:218:8
	s_and_saveexec_b64 s[6:7], s[52:53]
	s_cbranch_execz .LBB0_32
; %bb.31:
	global_load_ushort v13, v[4:5], off offset:1536
.LBB0_32:
	.loc	1 0 8 is_stmt 0                 ; rms_norm_aot.py:0:8
	s_or_b64 exec, exec, s[6:7]
	.loc	1 224 24 is_stmt 1              ; rms_norm_aot.py:224:24
	v_bfrev_b32_e32 v4, 1
	v_lshlrev_b32_e32 v5, 1, v19
	v_cndmask_b32_e64 v19, v4, v5, s[12:13]
	v_lshlrev_b32_e32 v5, 1, v20
	s_and_b32 s21, s21, 0xffff
	s_mov_b32 s23, 0x27000
	s_mov_b32 s22, 0x7ffffffe
	v_cndmask_b32_e32 v26, v4, v2, vcc
	v_cndmask_b32_e64 v20, v4, v5, s[16:17]
	v_lshlrev_b32_e32 v5, 1, v21
	v_cndmask_b32_e64 v21, v4, v5, s[10:11]
	buffer_load_ushort v4, v26, s[20:23], 0 offen
	buffer_load_ushort v5, v19, s[20:23], 0 offen
	;; [unrolled: 1-line block ×4, first 2 shown]
	.loc	1 228 25                        ; rms_norm_aot.py:228:25
	s_waitcnt vmcnt(4)
	v_cvt_f32_f16_e32 v7, v7
	v_cvt_f32_f16_e32 v19, v3
	;; [unrolled: 1-line block ×4, first 2 shown]
	.loc	1 240 33                        ; rms_norm_aot.py:240:33
	v_mul_f32_e32 v3, v7, v7
.Ltmp2:
	.file	2 "/root/.local/lib/python3.13/site-packages/triton/language" "standard.py"
	.loc	2 263 15                        ; standard.py:263:15 @[ standard.py:293:36 @[ rms_norm_aot.py:240:25 ] ]
	v_fma_mix_f32 v3, v1, v1, v3 op_sel_hi:[1,1,0]
.Ltmp3:
	.loc	1 240 33                        ; rms_norm_aot.py:240:33
	v_mul_f32_e32 v22, v21, v21
.Ltmp4:
	.loc	2 263 15                        ; standard.py:263:15 @[ standard.py:293:36 @[ rms_norm_aot.py:240:25 ] ]
	v_fma_mix_f32 v3, v9, v9, v3 op_sel_hi:[1,1,0]
	v_fma_mix_f32 v22, v16, v16, v22 op_sel_hi:[1,1,0]
	;; [unrolled: 1-line block ×4, first 2 shown]
.Ltmp5:
	.loc	1 240 33                        ; rms_norm_aot.py:240:33
	v_mul_f32_e32 v25, v20, v20
.Ltmp6:
	.loc	2 263 15                        ; standard.py:263:15 @[ standard.py:293:36 @[ rms_norm_aot.py:240:25 ] ]
	v_add_f32_dpp v3, v3, v3 row_shr:8 row_mask:0xf bank_mask:0xf bound_ctrl:1
	v_fma_mix_f32 v22, v10, v10, v22 op_sel_hi:[1,1,0]
	v_fma_mix_f32 v25, v17, v17, v25 op_sel_hi:[1,1,0]
	v_add_f32_dpp v3, v3, v3 row_shr:4 row_mask:0xf bank_mask:0xf bound_ctrl:1
	v_fma_mix_f32 v25, v14, v14, v25 op_sel_hi:[1,1,0]
.Ltmp7:
	.loc	1 240 33                        ; rms_norm_aot.py:240:33
	v_mul_f32_e32 v26, v19, v19
.Ltmp8:
	.loc	2 263 15                        ; standard.py:263:15 @[ standard.py:293:36 @[ rms_norm_aot.py:240:25 ] ]
	v_add_f32_dpp v3, v3, v3 row_shr:2 row_mask:0xf bank_mask:0xf bound_ctrl:1
	v_fma_mix_f32 v25, v11, v11, v25 op_sel_hi:[1,1,0]
	v_fma_mix_f32 v26, v18, v18, v26 op_sel_hi:[1,1,0]
	v_add_f32_dpp v3, v3, v3 row_shr:1 row_mask:0xf bank_mask:0xf bound_ctrl:1
.Ltmp9:
	.loc	2 293 36                        ; standard.py:293:36 @[ rms_norm_aot.py:240:25 ]
	v_mov_b32_e32 v27, v3
.Ltmp10:
	.loc	2 263 15                        ; standard.py:263:15 @[ standard.py:293:36 @[ rms_norm_aot.py:240:25 ] ]
	v_fma_mix_f32 v26, v15, v15, v26 op_sel_hi:[1,1,0]
.Ltmp11:
	.loc	2 293 36                        ; standard.py:293:36 @[ rms_norm_aot.py:240:25 ]
	v_cmp_eq_u32_e32 vcc, 0, v6
	v_mov_b32_dpp v27, v27 row_bcast:15 row_mask:0xa bank_mask:0xf bound_ctrl:1
.Ltmp12:
	.loc	2 263 15                        ; standard.py:263:15 @[ standard.py:293:36 @[ rms_norm_aot.py:240:25 ] ]
	v_add_f32_e32 v3, v3, v27
	v_fma_mix_f32 v26, v13, v13, v26 op_sel_hi:[1,1,0]
	s_nop 0
	v_add_f32_dpp v3, v3, v3 row_bcast:31 row_mask:0xf bank_mask:0xf bound_ctrl:1
.Ltmp13:
	.loc	2 293 36                        ; standard.py:293:36 @[ rms_norm_aot.py:240:25 ]
	s_nop 0
	v_readlane_b32 s10, v3, 63
.Ltmp14:
	.loc	2 263 15                        ; standard.py:263:15 @[ standard.py:293:36 @[ rms_norm_aot.py:240:25 ] ]
	v_add_f32_dpp v3, v22, v22 row_shr:8 row_mask:0xf bank_mask:0xf bound_ctrl:1
	s_nop 1
	v_add_f32_dpp v3, v3, v3 row_shr:4 row_mask:0xf bank_mask:0xf bound_ctrl:1
	s_nop 1
	;; [unrolled: 2-line block ×3, first 2 shown]
	v_add_f32_dpp v3, v3, v3 row_shr:1 row_mask:0xf bank_mask:0xf bound_ctrl:1
.Ltmp15:
	.loc	2 293 36                        ; standard.py:293:36 @[ rms_norm_aot.py:240:25 ]
	v_mov_b32_e32 v22, v3
	s_nop 1
	v_mov_b32_dpp v22, v22 row_bcast:15 row_mask:0xa bank_mask:0xf bound_ctrl:1
.Ltmp16:
	.loc	2 263 15                        ; standard.py:263:15 @[ standard.py:293:36 @[ rms_norm_aot.py:240:25 ] ]
	v_add_f32_e32 v3, v3, v22
	s_nop 1
	v_add_f32_dpp v3, v3, v3 row_bcast:31 row_mask:0xf bank_mask:0xf bound_ctrl:1
.Ltmp17:
	.loc	2 293 36                        ; standard.py:293:36 @[ rms_norm_aot.py:240:25 ]
	s_nop 0
	v_readlane_b32 s11, v3, 63
.Ltmp18:
	.loc	2 263 15                        ; standard.py:263:15 @[ standard.py:293:36 @[ rms_norm_aot.py:240:25 ] ]
	v_add_f32_dpp v3, v25, v25 row_shr:8 row_mask:0xf bank_mask:0xf bound_ctrl:1
	s_nop 1
	v_add_f32_dpp v3, v3, v3 row_shr:4 row_mask:0xf bank_mask:0xf bound_ctrl:1
	s_nop 1
	;; [unrolled: 2-line block ×3, first 2 shown]
	v_add_f32_dpp v3, v3, v3 row_shr:1 row_mask:0xf bank_mask:0xf bound_ctrl:1
.Ltmp19:
	.loc	2 293 36                        ; standard.py:293:36 @[ rms_norm_aot.py:240:25 ]
	v_mov_b32_e32 v22, v3
	s_nop 1
	v_mov_b32_dpp v22, v22 row_bcast:15 row_mask:0xa bank_mask:0xf bound_ctrl:1
.Ltmp20:
	.loc	2 263 15                        ; standard.py:263:15 @[ standard.py:293:36 @[ rms_norm_aot.py:240:25 ] ]
	v_add_f32_e32 v3, v3, v22
	s_nop 1
	v_add_f32_dpp v3, v3, v3 row_bcast:31 row_mask:0xf bank_mask:0xf bound_ctrl:1
.Ltmp21:
	.loc	2 293 36                        ; standard.py:293:36 @[ rms_norm_aot.py:240:25 ]
	s_nop 0
	v_readlane_b32 s12, v3, 63
.Ltmp22:
	.loc	2 263 15                        ; standard.py:263:15 @[ standard.py:293:36 @[ rms_norm_aot.py:240:25 ] ]
	v_add_f32_dpp v3, v26, v26 row_shr:8 row_mask:0xf bank_mask:0xf bound_ctrl:1
	s_nop 1
	v_add_f32_dpp v3, v3, v3 row_shr:4 row_mask:0xf bank_mask:0xf bound_ctrl:1
	s_nop 1
	;; [unrolled: 2-line block ×3, first 2 shown]
	v_add_f32_dpp v3, v3, v3 row_shr:1 row_mask:0xf bank_mask:0xf bound_ctrl:1
.Ltmp23:
	.loc	2 293 36                        ; standard.py:293:36 @[ rms_norm_aot.py:240:25 ]
	v_mov_b32_e32 v22, v3
	s_nop 1
	v_mov_b32_dpp v22, v22 row_bcast:15 row_mask:0xa bank_mask:0xf bound_ctrl:1
.Ltmp24:
	.loc	2 263 15                        ; standard.py:263:15 @[ standard.py:293:36 @[ rms_norm_aot.py:240:25 ] ]
	v_add_f32_e32 v3, v3, v22
	s_nop 1
	v_add_f32_dpp v3, v3, v3 row_bcast:31 row_mask:0xf bank_mask:0xf bound_ctrl:1
.Ltmp25:
	.loc	2 293 36                        ; standard.py:293:36 @[ rms_norm_aot.py:240:25 ]
	s_nop 0
	v_readlane_b32 s13, v3, 63
	s_and_saveexec_b64 s[6:7], vcc
	s_cbranch_execz .LBB0_34
; %bb.33:                               ; %.critedge
	.loc	2 0 36 is_stmt 0                ; standard.py:0:36
	s_lshr_b32 s16, s56, 4
	s_and_b32 s16, s16, 12
	s_add_i32 s16, s16, 0
	.loc	2 293 36                        ; standard.py:293:36 @[ rms_norm_aot.py:240:25 ]
	v_mov_b32_e32 v3, s16
	v_mov_b32_e32 v6, s10
	;; [unrolled: 1-line block ×3, first 2 shown]
	ds_write2_b32 v3, v6, v22 offset1:4
	v_mov_b32_e32 v6, s12
	v_mov_b32_e32 v22, s13
	ds_write2_b32 v3, v6, v22 offset0:8 offset1:12
.LBB0_34:                               ; %.critedge4
	.loc	2 0 36                          ; standard.py:0:36
	s_or_b64 exec, exec, s[6:7]
	.loc	2 293 36                        ; standard.py:293:36 @[ rms_norm_aot.py:240:25 ]
	v_cmp_gt_u32_e32 vcc, 16, v0
	v_lshl_add_u32 v3, v0, 2, 0
.Ltmp26:
	.loc	1 240 25 is_stmt 1              ; rms_norm_aot.py:240:25
	v_mov_b32_e32 v22, 0
.Ltmp27:
	.loc	2 293 36                        ; standard.py:293:36 @[ rms_norm_aot.py:240:25 ]
	s_waitcnt lgkmcnt(0)
	s_barrier
	s_and_saveexec_b64 s[6:7], vcc
; %bb.35:
	ds_read_b32 v22, v3
; %bb.36:
	.loc	2 0 36 is_stmt 0                ; standard.py:0:36
	s_or_b64 exec, exec, s[6:7]
	s_load_dword s11, s[0:1], 0x44
	.loc	2 293 36                        ; standard.py:293:36 @[ rms_norm_aot.py:240:25 ]
	s_waitcnt lgkmcnt(0)
	v_mov_b32_e32 v25, v22
.Ltmp28:
	.loc	1 212 58 is_stmt 1              ; rms_norm_aot.py:212:58
	v_and_b32_e32 v6, 3, v0
.Ltmp29:
	.loc	2 293 36                        ; standard.py:293:36 @[ rms_norm_aot.py:240:25 ]
	v_cmp_eq_u32_e64 s[6:7], 0, v6
	v_mov_b32_dpp v25, v25 quad_perm:[2,3,0,1] row_mask:0xf bank_mask:0xf
.Ltmp30:
	.loc	2 263 15                        ; standard.py:263:15 @[ standard.py:293:36 @[ rms_norm_aot.py:240:25 ] ]
	v_add_f32_e32 v22, v22, v25
.Ltmp31:
	.loc	2 293 36                        ; standard.py:293:36 @[ rms_norm_aot.py:240:25 ]
	v_mov_b32_e32 v25, v22
	s_and_b64 s[12:13], vcc, s[6:7]
	s_nop 0
	v_mov_b32_dpp v25, v25 quad_perm:[1,0,3,2] row_mask:0xf bank_mask:0xf
	s_and_saveexec_b64 s[6:7], s[12:13]
; %bb.37:
	.loc	2 0 36 is_stmt 0                ; standard.py:0:36
	v_add_f32_e32 v22, v22, v25
	.loc	2 293 36                        ; standard.py:293:36 @[ rms_norm_aot.py:240:25 ]
	ds_write_b32 v3, v22
.Ltmp32:
; %bb.38:
	.loc	2 0 36                          ; standard.py:0:36
	s_or_b64 exec, exec, s[6:7]
	.loc	1 240 50 is_stmt 1              ; rms_norm_aot.py:240:50
	v_cvt_f32_i32_e32 v22, s55
.Ltmp33:
	.loc	2 293 36                        ; standard.py:293:36 @[ rms_norm_aot.py:240:25 ]
	v_mov_b32_e32 v3, 0
	s_waitcnt lgkmcnt(0)
	s_barrier
	ds_read_b32 v25, v3
	ds_read_b32 v26, v3 offset:16
	ds_read_b32 v27, v3 offset:32
	;; [unrolled: 1-line block ×3, first 2 shown]
	s_load_dword s10, s[0:1], 0x48
.Ltmp34:
	.loc	1 240 50                        ; rms_norm_aot.py:240:50
	s_waitcnt lgkmcnt(0)
	v_div_scale_f32 v29, s[6:7], v22, v22, v25
	v_rcp_f32_e32 v30, v29
	v_cvt_f32_f16_e32 v1, v1
	.loc	1 246 57                        ; rms_norm_aot.py:246:57
	v_and_or_b32 v0, v0, 60, s33
	s_waitcnt lgkmcnt(0)
	.loc	1 240 50                        ; rms_norm_aot.py:240:50
	v_fma_f32 v31, -v29, v30, 1.0
	v_fmac_f32_e32 v30, v31, v30
	v_div_scale_f32 v31, vcc, v25, v22, v25
	v_mul_f32_e32 v32, v31, v30
	v_fma_f32 v33, -v29, v32, v31
	v_fmac_f32_e32 v32, v33, v30
	v_fma_f32 v29, -v29, v32, v31
	v_div_scale_f32 v31, s[6:7], v22, v22, v26
	v_rcp_f32_e32 v33, v31
	v_div_fmas_f32 v29, v29, v30, v32
	v_div_fixup_f32 v25, v29, v22, v25
	.loc	1 241 31                        ; rms_norm_aot.py:241:31
	v_add_f32_e32 v25, s11, v25
	.loc	1 240 50                        ; rms_norm_aot.py:240:50
	v_fma_f32 v29, -v31, v33, 1.0
	v_fmac_f32_e32 v33, v29, v33
	v_div_scale_f32 v29, vcc, v26, v22, v26
	v_mul_f32_e32 v30, v29, v33
	v_fma_f32 v32, -v31, v30, v29
	v_fmac_f32_e32 v30, v32, v33
	v_fma_f32 v29, -v31, v30, v29
	v_div_scale_f32 v31, s[6:7], v22, v22, v27
	v_rcp_f32_e32 v32, v31
	v_div_fmas_f32 v29, v29, v33, v30
	v_div_fixup_f32 v26, v29, v22, v26
	.loc	1 241 31                        ; rms_norm_aot.py:241:31
	v_add_f32_e32 v26, s11, v26
	.loc	1 240 50                        ; rms_norm_aot.py:240:50
	v_fma_f32 v29, -v31, v32, 1.0
	v_fmac_f32_e32 v32, v29, v32
	v_div_scale_f32 v29, vcc, v27, v22, v27
	v_mul_f32_e32 v30, v29, v32
	v_fma_f32 v33, -v31, v30, v29
	v_fmac_f32_e32 v30, v33, v32
	v_fma_f32 v29, -v31, v30, v29
	v_div_scale_f32 v31, s[6:7], v22, v22, v28
	v_rcp_f32_e32 v33, v31
	v_div_fmas_f32 v29, v29, v32, v30
	v_div_fixup_f32 v27, v29, v22, v27
	.loc	1 241 17                        ; rms_norm_aot.py:241:17
	v_rsq_f32_e32 v26, v26
	.loc	1 240 50                        ; rms_norm_aot.py:240:50
	v_fma_f32 v29, -v31, v33, 1.0
	v_fmac_f32_e32 v33, v29, v33
	v_div_scale_f32 v29, vcc, v28, v22, v28
	v_mul_f32_e32 v30, v29, v33
	v_fma_f32 v32, -v31, v30, v29
	v_fmac_f32_e32 v30, v32, v33
	v_fma_f32 v29, -v31, v30, v29
	v_div_fmas_f32 v29, v29, v33, v30
	v_div_fixup_f32 v22, v29, v22, v28
	.loc	1 241 31                        ; rms_norm_aot.py:241:31
	v_add_f32_e32 v28, s11, v27
	v_add_f32_e32 v22, s11, v22
	.loc	1 241 17 is_stmt 0              ; rms_norm_aot.py:241:17
	v_rsq_f32_e32 v27, v25
	v_rsq_f32_e32 v25, v28
	;; [unrolled: 1-line block ×3, first 2 shown]
	.loc	1 212 45 is_stmt 1              ; rms_norm_aot.py:212:45
	v_or_b32_e32 v28, s5, v6
	.loc	1 214 25                        ; rms_norm_aot.py:214:25
	v_cmp_gt_i32_e32 vcc, s54, v28
	.loc	1 246 57                        ; rms_norm_aot.py:246:57
	v_cmp_eq_u32_e64 s[6:7], 0, v0
	v_cvt_pk_f16_f32 v30, v27, v26
	v_cvt_pk_f16_f32 v31, v25, v22
	s_and_b64 s[12:13], vcc, s[6:7]
	s_barrier
	ds_write_b64 v3, v[30:31]
	s_waitcnt lgkmcnt(0)
	s_barrier
	s_and_saveexec_b64 s[6:7], s[12:13]
	s_cbranch_execz .LBB0_40
; %bb.39:
	.loc	1 0 57 is_stmt 0                ; rms_norm_aot.py:0:57
	s_load_dword s0, s[0:1], 0x38
	.loc	1 246 57                        ; rms_norm_aot.py:246:57
	v_lshl_add_u32 v0, v6, 1, 0
	ds_read_u16 v0, v0
	.loc	1 246 34                        ; rms_norm_aot.py:246:34
	s_waitcnt lgkmcnt(0)
	v_mul_lo_u32 v28, s0, v28
	.loc	1 246 24                        ; rms_norm_aot.py:246:24
	v_ashrrev_i32_e32 v29, 31, v28
	v_lshl_add_u64 v[28:29], v[28:29], 1, s[14:15]
	.loc	1 246 57                        ; rms_norm_aot.py:246:57
	global_store_short v[28:29], v0, off
.LBB0_40:
	.loc	1 0 57                          ; rms_norm_aot.py:0:57
	s_or_b64 exec, exec, s[6:7]
	.loc	1 248 20 is_stmt 1              ; rms_norm_aot.py:248:20
	v_mul_f32_e32 v0, v27, v1
	v_mul_f32_e32 v1, v27, v7
	.loc	1 252 25                        ; rms_norm_aot.py:252:25
	v_cvt_pk_f16_f32 v6, v0, v1
	.loc	1 255 34                        ; rms_norm_aot.py:255:34
	s_waitcnt vmcnt(2)
	v_cvt_f32_f16_e32 v1, v5
	v_cvt_f32_f16_e32 v0, v4
	.loc	1 263 35                        ; rms_norm_aot.py:263:35
	s_mul_i32 s0, s4, s5
	.loc	1 255 24                        ; rms_norm_aot.py:255:24
	v_cvt_f32_f16_e32 v4, v6
	v_cvt_f32_f16_sdwa v5, v6 dst_sel:DWORD dst_unused:UNUSED_PAD src0_sel:WORD_1
	.loc	1 263 16                        ; rms_norm_aot.py:263:16
	s_ashr_i32 s1, s0, 31
	s_lshl_b64 s[6:7], s[0:1], 1
	s_add_u32 s6, s2, s6
	.loc	1 255 34                        ; rms_norm_aot.py:255:34
	v_pk_add_f32 v[0:1], s[10:11], v[0:1] op_sel_hi:[0,1]
	.loc	1 263 16                        ; rms_norm_aot.py:263:16
	s_addc_u32 s7, s3, s7
	.loc	1 255 24                        ; rms_norm_aot.py:255:24
	v_pk_mul_f32 v[4:5], v[0:1], v[4:5]
	.loc	1 263 50                        ; rms_norm_aot.py:263:50
	v_lshl_add_u64 v[6:7], s[6:7], 0, v[2:3]
	.loc	1 264 8                         ; rms_norm_aot.py:264:8
	s_and_saveexec_b64 s[12:13], s[18:19]
	s_cbranch_execz .LBB0_42
; %bb.41:
	.loc	1 0 8 is_stmt 0                 ; rms_norm_aot.py:0:8
	v_cvt_f16_f32_e32 v3, v4
	.loc	1 264 8                         ; rms_norm_aot.py:264:8
	global_store_short v[6:7], v3, off
.LBB0_42:
	.loc	1 0 8                           ; rms_norm_aot.py:0:8
	s_or_b64 exec, exec, s[12:13]
	v_cvt_f32_f16_e32 v3, v9
	v_cvt_f32_f16_e32 v4, v8
	s_mov_b32 s11, s10
	.loc	1 264 8                         ; rms_norm_aot.py:264:8
	s_and_saveexec_b64 s[12:13], s[40:41]
	s_cbranch_execz .LBB0_44
; %bb.43:
	.loc	1 0 8                           ; rms_norm_aot.py:0:8
	v_cvt_f16_f32_e32 v5, v5
	.loc	1 264 8                         ; rms_norm_aot.py:264:8
	global_store_short v[6:7], v5, off offset:512
.LBB0_44:
	.loc	1 0 8                           ; rms_norm_aot.py:0:8
	s_or_b64 exec, exec, s[12:13]
	.loc	1 248 20 is_stmt 1              ; rms_norm_aot.py:248:20
	v_mul_f32_e32 v3, v27, v3
	v_mul_f32_e32 v4, v27, v4
	.loc	1 252 25                        ; rms_norm_aot.py:252:25
	v_cvt_pk_f16_f32 v3, v3, v4
	.loc	1 255 34                        ; rms_norm_aot.py:255:34
	s_waitcnt vmcnt(0)
	v_cvt_f32_f16_e32 v5, v24
	v_cvt_f32_f16_e32 v4, v23
	.loc	1 255 24 is_stmt 0              ; rms_norm_aot.py:255:24
	v_cvt_f32_f16_e32 v8, v3
	v_cvt_f32_f16_sdwa v9, v3 dst_sel:DWORD dst_unused:UNUSED_PAD src0_sel:WORD_1
	.loc	1 255 34                        ; rms_norm_aot.py:255:34
	v_pk_add_f32 v[4:5], s[10:11], v[4:5]
	.loc	1 255 24                        ; rms_norm_aot.py:255:24
	s_nop 0
	v_pk_mul_f32 v[8:9], v[4:5], v[8:9]
	.loc	1 264 8 is_stmt 1               ; rms_norm_aot.py:264:8
	s_and_saveexec_b64 s[10:11], s[30:31]
	s_cbranch_execz .LBB0_46
; %bb.45:
	.loc	1 0 8 is_stmt 0                 ; rms_norm_aot.py:0:8
	v_cvt_f16_f32_e32 v3, v8
	.loc	1 264 8                         ; rms_norm_aot.py:264:8
	global_store_short v[6:7], v3, off offset:1024
.LBB0_46:
	.loc	1 0 8                           ; rms_norm_aot.py:0:8
	s_or_b64 exec, exec, s[10:11]
	v_cvt_f32_f16_e32 v3, v16
	.loc	1 264 8                         ; rms_norm_aot.py:264:8
	s_and_saveexec_b64 s[10:11], s[38:39]
	s_cbranch_execz .LBB0_48
; %bb.47:
	.loc	1 0 8                           ; rms_norm_aot.py:0:8
	v_cvt_f16_f32_e32 v8, v9
	.loc	1 264 8                         ; rms_norm_aot.py:264:8
	global_store_short v[6:7], v8, off offset:1536
.LBB0_48:
	.loc	1 0 8                           ; rms_norm_aot.py:0:8
	s_or_b64 exec, exec, s[10:11]
	.loc	1 248 20 is_stmt 1              ; rms_norm_aot.py:248:20
	v_mul_f32_e32 v3, v26, v3
	v_mul_f32_e32 v6, v26, v21
	.loc	1 252 25                        ; rms_norm_aot.py:252:25
	v_cvt_pk_f16_f32 v3, v3, v6
	.loc	1 255 24                        ; rms_norm_aot.py:255:24
	v_cvt_f32_f16_e32 v6, v3
	v_cvt_f32_f16_sdwa v7, v3 dst_sel:DWORD dst_unused:UNUSED_PAD src0_sel:WORD_1
	.loc	1 263 16                        ; rms_norm_aot.py:263:16
	s_ashr_i32 s5, s4, 31
	s_lshl_b64 s[10:11], s[4:5], 1
	s_add_u32 s6, s6, s10
	s_addc_u32 s7, s7, s11
	.loc	1 263 50 is_stmt 0              ; rms_norm_aot.py:263:50
	v_mov_b32_e32 v3, 0
	.loc	1 255 24 is_stmt 1              ; rms_norm_aot.py:255:24
	v_pk_mul_f32 v[8:9], v[0:1], v[6:7]
	.loc	1 263 50                        ; rms_norm_aot.py:263:50
	v_lshl_add_u64 v[6:7], s[6:7], 0, v[2:3]
	.loc	1 264 8                         ; rms_norm_aot.py:264:8
	s_and_saveexec_b64 s[6:7], s[24:25]
	s_cbranch_execz .LBB0_50
; %bb.49:
	.loc	1 0 8 is_stmt 0                 ; rms_norm_aot.py:0:8
	v_cvt_f16_f32_e32 v3, v8
	.loc	1 264 8                         ; rms_norm_aot.py:264:8
	global_store_short v[6:7], v3, off
.LBB0_50:
	.loc	1 0 8                           ; rms_norm_aot.py:0:8
	s_or_b64 exec, exec, s[6:7]
	v_cvt_f32_f16_e32 v3, v12
	v_cvt_f32_f16_e32 v8, v10
	.loc	1 264 8                         ; rms_norm_aot.py:264:8
	s_and_saveexec_b64 s[6:7], s[42:43]
	s_cbranch_execz .LBB0_52
; %bb.51:
	.loc	1 0 8                           ; rms_norm_aot.py:0:8
	v_cvt_f16_f32_e32 v9, v9
	.loc	1 264 8                         ; rms_norm_aot.py:264:8
	global_store_short v[6:7], v9, off offset:512
.LBB0_52:
	.loc	1 0 8                           ; rms_norm_aot.py:0:8
	s_or_b64 exec, exec, s[6:7]
	.loc	1 248 20 is_stmt 1              ; rms_norm_aot.py:248:20
	v_mul_f32_e32 v3, v26, v3
	v_mul_f32_e32 v8, v26, v8
	.loc	1 252 25                        ; rms_norm_aot.py:252:25
	v_cvt_pk_f16_f32 v3, v3, v8
	.loc	1 255 24                        ; rms_norm_aot.py:255:24
	v_cvt_f32_f16_e32 v8, v3
	v_cvt_f32_f16_sdwa v9, v3 dst_sel:DWORD dst_unused:UNUSED_PAD src0_sel:WORD_1
	v_pk_mul_f32 v[8:9], v[4:5], v[8:9]
	.loc	1 264 8                         ; rms_norm_aot.py:264:8
	s_and_saveexec_b64 s[6:7], s[34:35]
	s_cbranch_execz .LBB0_54
; %bb.53:
	.loc	1 0 8 is_stmt 0                 ; rms_norm_aot.py:0:8
	v_cvt_f16_f32_e32 v3, v8
	.loc	1 264 8                         ; rms_norm_aot.py:264:8
	global_store_short v[6:7], v3, off offset:1024
.LBB0_54:
	.loc	1 0 8                           ; rms_norm_aot.py:0:8
	s_or_b64 exec, exec, s[6:7]
	v_cvt_f32_f16_e32 v3, v17
	.loc	1 264 8                         ; rms_norm_aot.py:264:8
	s_and_saveexec_b64 s[6:7], s[44:45]
	s_cbranch_execz .LBB0_56
; %bb.55:
	.loc	1 0 8                           ; rms_norm_aot.py:0:8
	v_cvt_f16_f32_e32 v8, v9
	.loc	1 264 8                         ; rms_norm_aot.py:264:8
	global_store_short v[6:7], v8, off offset:1536
.LBB0_56:
	.loc	1 0 8                           ; rms_norm_aot.py:0:8
	s_or_b64 exec, exec, s[6:7]
	.loc	1 248 20 is_stmt 1              ; rms_norm_aot.py:248:20
	v_mul_f32_e32 v3, v25, v3
	v_mul_f32_e32 v6, v25, v20
	.loc	1 252 25                        ; rms_norm_aot.py:252:25
	v_cvt_pk_f16_f32 v3, v3, v6
	.loc	1 263 35                        ; rms_norm_aot.py:263:35
	s_lshl1_add_u32 s6, s4, s0
	.loc	1 255 24                        ; rms_norm_aot.py:255:24
	v_cvt_f32_f16_e32 v6, v3
	v_cvt_f32_f16_sdwa v7, v3 dst_sel:DWORD dst_unused:UNUSED_PAD src0_sel:WORD_1
	.loc	1 263 16                        ; rms_norm_aot.py:263:16
	s_ashr_i32 s7, s6, 31
	s_lshl_b64 s[6:7], s[6:7], 1
	s_add_u32 s6, s2, s6
	s_addc_u32 s7, s3, s7
	.loc	1 263 50 is_stmt 0              ; rms_norm_aot.py:263:50
	v_mov_b32_e32 v3, 0
	.loc	1 255 24 is_stmt 1              ; rms_norm_aot.py:255:24
	v_pk_mul_f32 v[8:9], v[0:1], v[6:7]
	.loc	1 263 50                        ; rms_norm_aot.py:263:50
	v_lshl_add_u64 v[6:7], s[6:7], 0, v[2:3]
	.loc	1 264 8                         ; rms_norm_aot.py:264:8
	s_and_saveexec_b64 s[6:7], s[26:27]
	s_cbranch_execz .LBB0_58
; %bb.57:
	.loc	1 0 8 is_stmt 0                 ; rms_norm_aot.py:0:8
	v_cvt_f16_f32_e32 v3, v8
	.loc	1 264 8                         ; rms_norm_aot.py:264:8
	global_store_short v[6:7], v3, off
.LBB0_58:
	.loc	1 0 8                           ; rms_norm_aot.py:0:8
	s_or_b64 exec, exec, s[6:7]
	v_cvt_f32_f16_e32 v3, v14
	v_cvt_f32_f16_e32 v8, v11
	.loc	1 264 8                         ; rms_norm_aot.py:264:8
	s_and_saveexec_b64 s[6:7], s[46:47]
	s_cbranch_execz .LBB0_60
; %bb.59:
	.loc	1 0 8                           ; rms_norm_aot.py:0:8
	v_cvt_f16_f32_e32 v9, v9
	.loc	1 264 8                         ; rms_norm_aot.py:264:8
	global_store_short v[6:7], v9, off offset:512
.LBB0_60:
	.loc	1 0 8                           ; rms_norm_aot.py:0:8
	s_or_b64 exec, exec, s[6:7]
	.loc	1 248 20 is_stmt 1              ; rms_norm_aot.py:248:20
	v_mul_f32_e32 v3, v25, v3
	v_mul_f32_e32 v8, v25, v8
	.loc	1 252 25                        ; rms_norm_aot.py:252:25
	v_cvt_pk_f16_f32 v3, v3, v8
	.loc	1 255 24                        ; rms_norm_aot.py:255:24
	v_cvt_f32_f16_e32 v8, v3
	v_cvt_f32_f16_sdwa v9, v3 dst_sel:DWORD dst_unused:UNUSED_PAD src0_sel:WORD_1
	v_pk_mul_f32 v[8:9], v[4:5], v[8:9]
	.loc	1 264 8                         ; rms_norm_aot.py:264:8
	s_and_saveexec_b64 s[6:7], s[36:37]
	s_cbranch_execz .LBB0_62
; %bb.61:
	.loc	1 0 8 is_stmt 0                 ; rms_norm_aot.py:0:8
	v_cvt_f16_f32_e32 v3, v8
	.loc	1 264 8                         ; rms_norm_aot.py:264:8
	global_store_short v[6:7], v3, off offset:1024
.LBB0_62:
	.loc	1 0 8                           ; rms_norm_aot.py:0:8
	s_or_b64 exec, exec, s[6:7]
	v_cvt_f32_f16_e32 v3, v18
	.loc	1 264 8                         ; rms_norm_aot.py:264:8
	s_and_saveexec_b64 s[6:7], s[48:49]
	s_cbranch_execz .LBB0_64
; %bb.63:
	.loc	1 0 8                           ; rms_norm_aot.py:0:8
	v_cvt_f16_f32_e32 v8, v9
	.loc	1 264 8                         ; rms_norm_aot.py:264:8
	global_store_short v[6:7], v8, off offset:1536
.LBB0_64:
	.loc	1 0 8                           ; rms_norm_aot.py:0:8
	s_or_b64 exec, exec, s[6:7]
	.loc	1 248 20 is_stmt 1              ; rms_norm_aot.py:248:20
	v_mul_f32_e32 v3, v22, v3
	v_mul_f32_e32 v6, v22, v19
	.loc	1 263 35                        ; rms_norm_aot.py:263:35
	s_mul_i32 s1, s4, 3
	.loc	1 252 25                        ; rms_norm_aot.py:252:25
	v_cvt_pk_f16_f32 v3, v3, v6
	.loc	1 263 35                        ; rms_norm_aot.py:263:35
	s_add_i32 s0, s0, s1
	.loc	1 255 24                        ; rms_norm_aot.py:255:24
	v_cvt_f32_f16_e32 v6, v3
	v_cvt_f32_f16_sdwa v7, v3 dst_sel:DWORD dst_unused:UNUSED_PAD src0_sel:WORD_1
	.loc	1 263 16                        ; rms_norm_aot.py:263:16
	s_ashr_i32 s1, s0, 31
	s_lshl_b64 s[0:1], s[0:1], 1
	s_add_u32 s0, s2, s0
	s_addc_u32 s1, s3, s1
	.loc	1 263 50 is_stmt 0              ; rms_norm_aot.py:263:50
	v_mov_b32_e32 v3, 0
	.loc	1 255 24 is_stmt 1              ; rms_norm_aot.py:255:24
	v_pk_mul_f32 v[6:7], v[0:1], v[6:7]
	.loc	1 263 50                        ; rms_norm_aot.py:263:50
	v_lshl_add_u64 v[0:1], s[0:1], 0, v[2:3]
	.loc	1 264 8                         ; rms_norm_aot.py:264:8
	s_and_saveexec_b64 s[0:1], s[28:29]
	s_cbranch_execz .LBB0_66
; %bb.65:
	.loc	1 0 8 is_stmt 0                 ; rms_norm_aot.py:0:8
	v_cvt_f16_f32_e32 v2, v6
	.loc	1 264 8                         ; rms_norm_aot.py:264:8
	global_store_short v[0:1], v2, off
.LBB0_66:
	.loc	1 0 8                           ; rms_norm_aot.py:0:8
	s_or_b64 exec, exec, s[0:1]
	v_cvt_f32_f16_e32 v2, v15
	v_cvt_f32_f16_e32 v3, v13
	.loc	1 264 8                         ; rms_norm_aot.py:264:8
	s_and_saveexec_b64 s[0:1], s[50:51]
	s_cbranch_execz .LBB0_68
; %bb.67:
	.loc	1 0 8                           ; rms_norm_aot.py:0:8
	v_cvt_f16_f32_e32 v6, v7
	.loc	1 264 8                         ; rms_norm_aot.py:264:8
	global_store_short v[0:1], v6, off offset:512
.LBB0_68:
	.loc	1 0 8                           ; rms_norm_aot.py:0:8
	s_or_b64 exec, exec, s[0:1]
	.loc	1 248 20 is_stmt 1              ; rms_norm_aot.py:248:20
	v_mul_f32_e32 v2, v22, v2
	v_mul_f32_e32 v3, v22, v3
	.loc	1 252 25                        ; rms_norm_aot.py:252:25
	v_cvt_pk_f16_f32 v3, v2, v3
	.loc	1 255 24                        ; rms_norm_aot.py:255:24
	v_cvt_f32_f16_e32 v2, v3
	v_cvt_f32_f16_sdwa v3, v3 dst_sel:DWORD dst_unused:UNUSED_PAD src0_sel:WORD_1
	v_pk_mul_f32 v[2:3], v[4:5], v[2:3]
	.loc	1 264 8                         ; rms_norm_aot.py:264:8
	s_and_saveexec_b64 s[0:1], s[8:9]
	s_cbranch_execnz .LBB0_71
; %bb.69:
	.loc	1 0 8 is_stmt 0                 ; rms_norm_aot.py:0:8
	s_or_b64 exec, exec, s[0:1]
	.loc	1 264 8                         ; rms_norm_aot.py:264:8
	s_and_saveexec_b64 s[0:1], s[52:53]
	s_cbranch_execnz .LBB0_72
.LBB0_70:
	.loc	1 262 4 is_stmt 1               ; rms_norm_aot.py:262:4
	s_endpgm
.LBB0_71:
	.loc	1 0 4 is_stmt 0                 ; rms_norm_aot.py:0:4
	v_cvt_f16_f32_e32 v2, v2
	.loc	1 264 8 is_stmt 1               ; rms_norm_aot.py:264:8
	global_store_short v[0:1], v2, off offset:1024
	s_or_b64 exec, exec, s[0:1]
	s_and_saveexec_b64 s[0:1], s[52:53]
	s_cbranch_execz .LBB0_70
.LBB0_72:
	.loc	1 0 8 is_stmt 0                 ; rms_norm_aot.py:0:8
	v_cvt_f16_f32_e32 v2, v3
	.loc	1 264 8                         ; rms_norm_aot.py:264:8
	global_store_short v[0:1], v2, off offset:1536
	.loc	1 262 4 is_stmt 1               ; rms_norm_aot.py:262:4
	s_endpgm
.Ltmp35:
	.section	.rodata,"a",@progbits
	.p2align	6, 0x0
	.amdhsa_kernel _block_rms_norm_forward_kernel
		.amdhsa_group_segment_fixed_size 0
		.amdhsa_private_segment_fixed_size 0
		.amdhsa_kernarg_size 96
		.amdhsa_user_sgpr_count 16
		.amdhsa_user_sgpr_dispatch_ptr 0
		.amdhsa_user_sgpr_queue_ptr 0
		.amdhsa_user_sgpr_kernarg_segment_ptr 1
		.amdhsa_user_sgpr_dispatch_id 0
		.amdhsa_user_sgpr_kernarg_preload_length 14
		.amdhsa_user_sgpr_kernarg_preload_offset 0
		.amdhsa_user_sgpr_private_segment_size 0
		.amdhsa_uses_dynamic_stack 0
		.amdhsa_enable_private_segment 0
		.amdhsa_system_sgpr_workgroup_id_x 1
		.amdhsa_system_sgpr_workgroup_id_y 0
		.amdhsa_system_sgpr_workgroup_id_z 0
		.amdhsa_system_sgpr_workgroup_info 0
		.amdhsa_system_vgpr_workitem_id 0
		.amdhsa_next_free_vgpr 34
		.amdhsa_next_free_sgpr 57
		.amdhsa_accum_offset 36
		.amdhsa_reserve_vcc 1
		.amdhsa_reserve_xnack_mask 1
		.amdhsa_float_round_mode_32 0
		.amdhsa_float_round_mode_16_64 0
		.amdhsa_float_denorm_mode_32 3
		.amdhsa_float_denorm_mode_16_64 3
		.amdhsa_dx10_clamp 1
		.amdhsa_ieee_mode 1
		.amdhsa_fp16_overflow 0
		.amdhsa_tg_split 0
		.amdhsa_exception_fp_ieee_invalid_op 0
		.amdhsa_exception_fp_denorm_src 0
		.amdhsa_exception_fp_ieee_div_zero 0
		.amdhsa_exception_fp_ieee_overflow 0
		.amdhsa_exception_fp_ieee_underflow 0
		.amdhsa_exception_fp_ieee_inexact 0
		.amdhsa_exception_int_div_zero 0
	.end_amdhsa_kernel
	.text
.Lfunc_end0:
	.size	_block_rms_norm_forward_kernel, .Lfunc_end0-_block_rms_norm_forward_kernel
	.cfi_endproc
                                        ; -- End function
	.set _block_rms_norm_forward_kernel.num_vgpr, 34
	.set _block_rms_norm_forward_kernel.num_agpr, 0
	.set _block_rms_norm_forward_kernel.numbered_sgpr, 57
	.set _block_rms_norm_forward_kernel.num_named_barrier, 0
	.set _block_rms_norm_forward_kernel.private_seg_size, 0
	.set _block_rms_norm_forward_kernel.uses_vcc, 1
	.set _block_rms_norm_forward_kernel.uses_flat_scratch, 0
	.set _block_rms_norm_forward_kernel.has_dyn_sized_stack, 0
	.set _block_rms_norm_forward_kernel.has_recursion, 0
	.set _block_rms_norm_forward_kernel.has_indirect_call, 0
	.section	.AMDGPU.csdata,"",@progbits
; Kernel info:
; codeLenInByte = 3152
; TotalNumSgprs: 63
; NumVgprs: 34
; NumAgprs: 0
; TotalNumVgprs: 34
; ScratchSize: 0
; MemoryBound: 0
; FloatMode: 240
; IeeeMode: 1
; LDSByteSize: 0 bytes/workgroup (compile time only)
; SGPRBlocks: 7
; VGPRBlocks: 4
; NumSGPRsForWavesPerEU: 63
; NumVGPRsForWavesPerEU: 34
; AccumOffset: 36
; Occupancy: 8
; WaveLimiterHint : 0
; COMPUTE_PGM_RSRC2:SCRATCH_EN: 0
; COMPUTE_PGM_RSRC2:USER_SGPR: 16
; COMPUTE_PGM_RSRC2:TRAP_HANDLER: 0
; COMPUTE_PGM_RSRC2:TGID_X_EN: 1
; COMPUTE_PGM_RSRC2:TGID_Y_EN: 0
; COMPUTE_PGM_RSRC2:TGID_Z_EN: 0
; COMPUTE_PGM_RSRC2:TIDIG_COMP_CNT: 0
; COMPUTE_PGM_RSRC3_GFX90A:ACCUM_OFFSET: 8
; COMPUTE_PGM_RSRC3_GFX90A:TG_SPLIT: 0
	.text
	.p2alignl 6, 3212836864
	.fill 256, 4, 3212836864
	.section	.AMDGPU.gpr_maximums,"",@progbits
	.set amdgpu.max_num_vgpr, 0
	.set amdgpu.max_num_agpr, 0
	.set amdgpu.max_num_sgpr, 0
	.set amdgpu.max_num_named_barrier, 0
	.text
	.section	.debug_abbrev,"",@progbits
	.byte	1                               ; Abbreviation Code
	.byte	17                              ; DW_TAG_compile_unit
	.byte	1                               ; DW_CHILDREN_yes
	.byte	37                              ; DW_AT_producer
	.byte	14                              ; DW_FORM_strp
	.byte	19                              ; DW_AT_language
	.byte	5                               ; DW_FORM_data2
	.byte	3                               ; DW_AT_name
	.byte	14                              ; DW_FORM_strp
	.byte	16                              ; DW_AT_stmt_list
	.byte	23                              ; DW_FORM_sec_offset
	.byte	27                              ; DW_AT_comp_dir
	.byte	14                              ; DW_FORM_strp
	.byte	17                              ; DW_AT_low_pc
	.byte	1                               ; DW_FORM_addr
	.byte	18                              ; DW_AT_high_pc
	.byte	6                               ; DW_FORM_data4
	.byte	0                               ; EOM(1)
	.byte	0                               ; EOM(2)
	.byte	2                               ; Abbreviation Code
	.byte	46                              ; DW_TAG_subprogram
	.byte	0                               ; DW_CHILDREN_no
	.byte	3                               ; DW_AT_name
	.byte	14                              ; DW_FORM_strp
	.byte	32                              ; DW_AT_inline
	.byte	11                              ; DW_FORM_data1
	.byte	0                               ; EOM(1)
	.byte	0                               ; EOM(2)
	.byte	3                               ; Abbreviation Code
	.byte	46                              ; DW_TAG_subprogram
	.byte	1                               ; DW_CHILDREN_yes
	.byte	17                              ; DW_AT_low_pc
	.byte	1                               ; DW_FORM_addr
	.byte	18                              ; DW_AT_high_pc
	.byte	6                               ; DW_FORM_data4
	.byte	49                              ; DW_AT_abstract_origin
	.byte	19                              ; DW_FORM_ref4
	.byte	0                               ; EOM(1)
	.byte	0                               ; EOM(2)
	.byte	4                               ; Abbreviation Code
	.byte	29                              ; DW_TAG_inlined_subroutine
	.byte	1                               ; DW_CHILDREN_yes
	.byte	49                              ; DW_AT_abstract_origin
	.byte	19                              ; DW_FORM_ref4
	.byte	85                              ; DW_AT_ranges
	.byte	23                              ; DW_FORM_sec_offset
	.byte	88                              ; DW_AT_call_file
	.byte	11                              ; DW_FORM_data1
	.byte	89                              ; DW_AT_call_line
	.byte	11                              ; DW_FORM_data1
	.byte	87                              ; DW_AT_call_column
	.byte	11                              ; DW_FORM_data1
	.byte	0                               ; EOM(1)
	.byte	0                               ; EOM(2)
	.byte	5                               ; Abbreviation Code
	.byte	29                              ; DW_TAG_inlined_subroutine
	.byte	0                               ; DW_CHILDREN_no
	.byte	49                              ; DW_AT_abstract_origin
	.byte	19                              ; DW_FORM_ref4
	.byte	85                              ; DW_AT_ranges
	.byte	23                              ; DW_FORM_sec_offset
	.byte	88                              ; DW_AT_call_file
	.byte	11                              ; DW_FORM_data1
	.byte	89                              ; DW_AT_call_line
	.byte	5                               ; DW_FORM_data2
	.byte	87                              ; DW_AT_call_column
	.byte	11                              ; DW_FORM_data1
	.byte	0                               ; EOM(1)
	.byte	0                               ; EOM(2)
	;; [unrolled: 1-line block ×3, first 2 shown]
	.section	.debug_info,"",@progbits
.Lcu_begin0:
	.long	.Ldebug_info_end0-.Ldebug_info_start0 ; Length of Unit
.Ldebug_info_start0:
	.short	4                               ; DWARF version number
	.long	.debug_abbrev                   ; Offset Into Abbrev. Section
	.byte	8                               ; Address Size (in bytes)
	.byte	1                               ; Abbrev [1] 0xb:0x52 DW_TAG_compile_unit
	.long	.Linfo_string0                  ; DW_AT_producer
	.short	2                               ; DW_AT_language
	.long	.Linfo_string1                  ; DW_AT_name
	.long	.Lline_table_start0             ; DW_AT_stmt_list
	.long	.Linfo_string2                  ; DW_AT_comp_dir
	.quad	.Lfunc_begin0                   ; DW_AT_low_pc
	.long	.Lfunc_end0-.Lfunc_begin0       ; DW_AT_high_pc
	.byte	2                               ; Abbrev [2] 0x2a:0x6 DW_TAG_subprogram
	.long	.Linfo_string3                  ; DW_AT_name
	.byte	1                               ; DW_AT_inline
	.byte	3                               ; Abbrev [3] 0x30:0x2c DW_TAG_subprogram
	.quad	.Lfunc_begin0                   ; DW_AT_low_pc
	.long	.Lfunc_end0-.Lfunc_begin0       ; DW_AT_high_pc
	.long	42                              ; DW_AT_abstract_origin
	.byte	4                               ; Abbrev [4] 0x41:0x1a DW_TAG_inlined_subroutine
	.long	42                              ; DW_AT_abstract_origin
	.long	.Ldebug_ranges0                 ; DW_AT_ranges
	.byte	1                               ; DW_AT_call_file
	.byte	240                             ; DW_AT_call_line
	.byte	25                              ; DW_AT_call_column
	.byte	5                               ; Abbrev [5] 0x4d:0xd DW_TAG_inlined_subroutine
	.long	42                              ; DW_AT_abstract_origin
	.long	.Ldebug_ranges1                 ; DW_AT_ranges
	.byte	2                               ; DW_AT_call_file
	.short	293                             ; DW_AT_call_line
	.byte	36                              ; DW_AT_call_column
	.byte	0                               ; End Of Children Mark
	.byte	0                               ; End Of Children Mark
	;; [unrolled: 1-line block ×3, first 2 shown]
.Ldebug_info_end0:
	.section	.debug_ranges,"",@progbits
.Ldebug_ranges0:
	.quad	.Ltmp2-.Lfunc_begin0
	.quad	.Ltmp3-.Lfunc_begin0
	;; [unrolled: 1-line block ×14, first 2 shown]
	.quad	0
	.quad	0
.Ldebug_ranges1:
	.quad	.Ltmp2-.Lfunc_begin0
	.quad	.Ltmp3-.Lfunc_begin0
	;; [unrolled: 1-line block ×26, first 2 shown]
	.quad	0
	.quad	0
	.section	.debug_str,"MS",@progbits,1
.Linfo_string0:
	.asciz	"triton"                        ; string offset=0
.Linfo_string1:
	.asciz	"rms_norm_aot.py"               ; string offset=7
.Linfo_string2:
	.asciz	"/root/src/amdgpu-assembly/repos/linkedin__Liger-Kernel/triton_aot_kernels" ; string offset=23
.Linfo_string3:
	.asciz	"_block_rms_norm_forward_kernel" ; string offset=97
	.section	".note.GNU-stack","",@progbits
	.amdgpu_metadata
---
amdhsa.kernels:
  - .agpr_count:     0
    .args:
      - .address_space:  global
        .offset:         0
        .size:           8
        .value_kind:     global_buffer
      - .offset:         8
        .size:           4
        .value_kind:     by_value
      - .address_space:  global
        .offset:         16
        .size:           8
        .value_kind:     global_buffer
      - .offset:         24
        .size:           4
        .value_kind:     by_value
      - .address_space:  global
        .offset:         32
        .size:           8
        .value_kind:     global_buffer
      - .offset:         40
        .size:           4
        .value_kind:     by_value
      - .address_space:  global
        .offset:         48
        .size:           8
        .value_kind:     global_buffer
      - .offset:         56
        .size:           4
        .value_kind:     by_value
      - .offset:         60
        .size:           4
        .value_kind:     by_value
      - .offset:         64
        .size:           4
        .value_kind:     by_value
      - .offset:         68
        .size:           4
        .value_kind:     by_value
      - .offset:         72
        .size:           4
        .value_kind:     by_value
      - .address_space:  global
        .offset:         80
        .size:           8
        .value_kind:     global_buffer
      - .address_space:  global
        .offset:         88
        .size:           8
        .value_kind:     global_buffer
    .group_segment_fixed_size: 0
    .kernarg_segment_align: 8
    .kernarg_segment_size: 96
    .max_flat_workgroup_size: 256
    .name:           _block_rms_norm_forward_kernel
    .private_segment_fixed_size: 0
    .sgpr_count:     63
    .sgpr_spill_count: 0
    .symbol:         _block_rms_norm_forward_kernel.kd
    .uniform_work_group_size: 1
    .uses_dynamic_stack: false
    .vgpr_count:     34
    .vgpr_spill_count: 0
    .wavefront_size: 64
amdhsa.target:   amdgcn-amd-amdhsa--gfx950
amdhsa.version:
  - 1
  - 2
...

	.end_amdgpu_metadata
	.section	.debug_line,"",@progbits
.Lline_table_start0:
